;; amdgpu-corpus repo=ROCm/rocFFT kind=compiled arch=gfx1030 opt=O3
	.text
	.amdgcn_target "amdgcn-amd-amdhsa--gfx1030"
	.amdhsa_code_object_version 6
	.protected	fft_rtc_fwd_len200_factors_8_5_5_wgs_400_tpt_40_dp_op_CI_CI_sbrc_aligned ; -- Begin function fft_rtc_fwd_len200_factors_8_5_5_wgs_400_tpt_40_dp_op_CI_CI_sbrc_aligned
	.globl	fft_rtc_fwd_len200_factors_8_5_5_wgs_400_tpt_40_dp_op_CI_CI_sbrc_aligned
	.p2align	8
	.type	fft_rtc_fwd_len200_factors_8_5_5_wgs_400_tpt_40_dp_op_CI_CI_sbrc_aligned,@function
fft_rtc_fwd_len200_factors_8_5_5_wgs_400_tpt_40_dp_op_CI_CI_sbrc_aligned: ; @fft_rtc_fwd_len200_factors_8_5_5_wgs_400_tpt_40_dp_op_CI_CI_sbrc_aligned
; %bb.0:
	s_clause 0x2
	s_load_dwordx8 s[8:15], s[4:5], 0x0
	s_load_dwordx2 s[24:25], s[4:5], 0x20
	s_load_dwordx4 s[16:19], s[4:5], 0x58
	s_mov_b32 s30, 0
	s_mov_b32 s28, 3
	s_mov_b64 s[34:35], 2
	s_mov_b32 s27, s30
	s_waitcnt lgkmcnt(0)
	s_load_dword s0, s[12:13], 0x8
	s_load_dwordx4 s[20:23], s[14:15], 0x0
	s_waitcnt lgkmcnt(0)
	s_add_i32 s0, s0, -1
	s_mul_hi_u32 s0, s0, 0xcccccccd
	s_lshr_b32 s0, s0, 3
	s_add_i32 s7, s0, 1
	v_cvt_f32_u32_e32 v1, s7
	s_sub_i32 s1, 0, s7
	v_rcp_iflag_f32_e32 v1, v1
	v_mul_f32_e32 v1, 0x4f7ffffe, v1
	v_cvt_u32_f32_e32 v1, v1
	v_readfirstlane_b32 s0, v1
	s_mul_i32 s1, s1, s0
	s_mul_hi_u32 s1, s0, s1
	s_add_i32 s0, s0, s1
	s_mul_hi_u32 s4, s6, s0
	s_load_dwordx4 s[0:3], s[24:25], 0x0
	s_mul_i32 s5, s4, s7
	s_waitcnt lgkmcnt(0)
	s_sub_i32 s3, s6, s5
	s_add_i32 s5, s4, 1
	s_sub_i32 s23, s3, s7
	s_cmp_ge_u32 s3, s7
	s_cselect_b32 s4, s5, s4
	s_cselect_b32 s3, s23, s3
	s_add_i32 s5, s4, 1
	s_cmp_ge_u32 s3, s7
	s_cselect_b32 s3, s5, s4
	v_cmp_gt_u64_e64 s4, s[10:11], 2
	s_mul_i32 s5, s3, s7
	s_sub_i32 s23, s6, s5
	s_mul_i32 s23, s23, 10
	s_and_b32 vcc_lo, exec_lo, s4
	s_mul_i32 s5, s1, s23
	s_mul_hi_u32 s29, s0, s23
	s_mul_i32 s26, s23, s22
	s_mul_i32 s4, s0, s23
	s_add_i32 s5, s29, s5
	s_cbranch_vccz .LBB0_8
.LBB0_1:                                ; =>This Inner Loop Header: Depth=1
	s_lshl_b64 s[36:37], s[34:35], 3
	s_add_u32 s34, s12, s36
	s_addc_u32 s35, s13, s37
	s_load_dwordx2 s[34:35], s[34:35], 0x0
	s_waitcnt lgkmcnt(0)
	s_mov_b32 s31, s35
	s_cmp_lg_u64 s[30:31], 0
	s_cbranch_scc0 .LBB0_6
; %bb.2:                                ;   in Loop: Header=BB0_1 Depth=1
	v_cvt_f32_u32_e32 v1, s34
	v_cvt_f32_u32_e32 v2, s35
	s_sub_u32 s33, 0, s34
	s_subb_u32 s38, 0, s35
	v_fmac_f32_e32 v1, 0x4f800000, v2
	v_rcp_f32_e32 v1, v1
	v_mul_f32_e32 v1, 0x5f7ffffc, v1
	v_mul_f32_e32 v2, 0x2f800000, v1
	v_trunc_f32_e32 v2, v2
	v_fmac_f32_e32 v1, 0xcf800000, v2
	v_cvt_u32_f32_e32 v2, v2
	v_cvt_u32_f32_e32 v1, v1
	v_readfirstlane_b32 s29, v2
	v_readfirstlane_b32 s31, v1
	s_mul_i32 s39, s33, s29
	s_mul_hi_u32 s41, s33, s31
	s_mul_i32 s40, s38, s31
	s_add_i32 s39, s41, s39
	s_mul_i32 s42, s33, s31
	s_add_i32 s39, s39, s40
	s_mul_hi_u32 s41, s31, s42
	s_mul_hi_u32 s43, s29, s42
	s_mul_i32 s40, s29, s42
	s_mul_hi_u32 s42, s31, s39
	s_mul_i32 s31, s31, s39
	s_mul_hi_u32 s44, s29, s39
	s_add_u32 s31, s41, s31
	s_addc_u32 s41, 0, s42
	s_add_u32 s31, s31, s40
	s_mul_i32 s39, s29, s39
	s_addc_u32 s31, s41, s43
	s_addc_u32 s40, s44, 0
	s_add_u32 s31, s31, s39
	s_addc_u32 s39, 0, s40
	v_add_co_u32 v1, s31, v1, s31
	s_cmp_lg_u32 s31, 0
	s_addc_u32 s29, s29, s39
	v_readfirstlane_b32 s31, v1
	s_mul_i32 s39, s33, s29
	s_mul_hi_u32 s40, s33, s31
	s_mul_i32 s38, s38, s31
	s_add_i32 s39, s40, s39
	s_mul_i32 s33, s33, s31
	s_add_i32 s39, s39, s38
	s_mul_hi_u32 s40, s29, s33
	s_mul_i32 s41, s29, s33
	s_mul_hi_u32 s33, s31, s33
	s_mul_hi_u32 s42, s31, s39
	s_mul_i32 s31, s31, s39
	s_mul_hi_u32 s38, s29, s39
	s_add_u32 s31, s33, s31
	s_addc_u32 s33, 0, s42
	s_add_u32 s31, s31, s41
	s_mul_i32 s39, s29, s39
	s_addc_u32 s31, s33, s40
	s_addc_u32 s33, s38, 0
	s_add_u32 s31, s31, s39
	s_addc_u32 s33, 0, s33
	v_add_co_u32 v1, s31, v1, s31
	s_cmp_lg_u32 s31, 0
	s_addc_u32 s29, s29, s33
	v_readfirstlane_b32 s31, v1
	s_mul_i32 s33, s3, s29
	s_mul_hi_u32 s29, s3, s29
	s_mul_hi_u32 s31, s3, s31
	s_add_u32 s31, s31, s33
	s_addc_u32 s31, 0, s29
	s_mul_i32 s29, s35, s31
	s_mul_hi_u32 s33, s34, s31
	s_mul_i32 s38, s34, s31
	s_add_i32 s33, s33, s29
	v_sub_co_u32 v1, s29, s3, s38
	s_sub_i32 s38, 0, s33
	s_cmp_lg_u32 s29, 0
	v_sub_co_u32 v2, s39, v1, s34
	s_subb_u32 s38, s38, s35
	s_cmp_lg_u32 s39, 0
	v_readfirstlane_b32 s39, v2
	s_subb_u32 s38, s38, 0
	s_cmp_ge_u32 s38, s35
	s_cselect_b32 s40, -1, 0
	s_cmp_ge_u32 s39, s34
	s_cselect_b32 s39, -1, 0
	s_cmp_eq_u32 s38, s35
	s_cselect_b32 s38, s39, s40
	s_add_u32 s39, s31, 1
	s_addc_u32 s40, 0, 0
	s_add_u32 s41, s31, 2
	s_addc_u32 s42, 0, 0
	s_cmp_lg_u32 s38, 0
	s_cselect_b32 s38, s41, s39
	s_cselect_b32 s39, s42, s40
	s_cmp_lg_u32 s29, 0
	v_readfirstlane_b32 s29, v1
	s_subb_u32 s33, 0, s33
	s_cmp_ge_u32 s33, s35
	s_cselect_b32 s40, -1, 0
	s_cmp_ge_u32 s29, s34
	s_cselect_b32 s29, -1, 0
	s_cmp_eq_u32 s33, s35
	s_cselect_b32 s29, s29, s40
	s_cmp_lg_u32 s29, 0
	s_cselect_b32 s39, s39, 0
	s_cselect_b32 s38, s38, s31
	s_cbranch_execnz .LBB0_4
.LBB0_3:                                ;   in Loop: Header=BB0_1 Depth=1
	v_cvt_f32_u32_e32 v1, s34
	s_sub_i32 s31, 0, s34
	s_mov_b32 s39, s30
	v_rcp_iflag_f32_e32 v1, v1
	v_mul_f32_e32 v1, 0x4f7ffffe, v1
	v_cvt_u32_f32_e32 v1, v1
	v_readfirstlane_b32 s29, v1
	s_mul_i32 s31, s31, s29
	s_mul_hi_u32 s31, s29, s31
	s_add_i32 s29, s29, s31
	s_mul_hi_u32 s29, s3, s29
	s_mul_i32 s31, s29, s34
	s_add_i32 s33, s29, 1
	s_sub_i32 s31, s3, s31
	s_sub_i32 s38, s31, s34
	s_cmp_ge_u32 s31, s34
	s_cselect_b32 s29, s33, s29
	s_cselect_b32 s31, s38, s31
	s_add_i32 s33, s29, 1
	s_cmp_ge_u32 s31, s34
	s_cselect_b32 s38, s33, s29
.LBB0_4:                                ;   in Loop: Header=BB0_1 Depth=1
	s_mul_i32 s29, s38, s35
	s_mul_hi_u32 s31, s38, s34
	s_mul_i32 s33, s38, s34
	s_add_i32 s29, s31, s29
	s_mul_i32 s31, s39, s34
	s_mul_i32 s7, s7, s34
	s_add_i32 s29, s29, s31
	s_sub_u32 s3, s3, s33
	s_subb_u32 s31, 0, s29
	s_add_u32 s40, s14, s36
	s_addc_u32 s41, s15, s37
	s_load_dwordx2 s[40:41], s[40:41], 0x0
	s_waitcnt lgkmcnt(0)
	s_mul_i32 s29, s40, s31
	s_mul_hi_u32 s33, s40, s3
	s_mul_i32 s35, s41, s3
	s_add_i32 s29, s33, s29
	s_mul_i32 s33, s40, s3
	s_add_i32 s29, s29, s35
	s_add_u32 s26, s33, s26
	s_addc_u32 s27, s29, s27
	s_add_u32 s36, s24, s36
	s_addc_u32 s37, s25, s37
	s_mov_b32 s29, s30
	s_load_dwordx2 s[36:37], s[36:37], 0x0
	s_mov_b64 s[34:35], s[28:29]
	v_cmp_ge_u64_e64 s29, s[28:29], s[10:11]
	s_waitcnt lgkmcnt(0)
	s_mul_i32 s31, s36, s31
	s_mul_hi_u32 s33, s36, s3
	s_mul_i32 s37, s37, s3
	s_add_i32 s31, s33, s31
	s_mul_i32 s3, s36, s3
	s_add_i32 s31, s31, s37
	s_add_u32 s4, s3, s4
	s_addc_u32 s5, s31, s5
	s_and_b32 vcc_lo, exec_lo, s29
	s_add_i32 s28, s28, 1
	s_cbranch_vccnz .LBB0_7
; %bb.5:                                ;   in Loop: Header=BB0_1 Depth=1
	s_mov_b32 s3, s38
	s_branch .LBB0_1
.LBB0_6:                                ;   in Loop: Header=BB0_1 Depth=1
                                        ; implicit-def: $sgpr38_sgpr39
	s_branch .LBB0_3
.LBB0_7:
	v_cvt_f32_u32_e32 v1, s7
	s_sub_i32 s12, 0, s7
	v_rcp_iflag_f32_e32 v1, v1
	v_mul_f32_e32 v1, 0x4f7ffffe, v1
	v_cvt_u32_f32_e32 v1, v1
	v_readfirstlane_b32 s3, v1
	s_mul_i32 s12, s12, s3
	s_mul_hi_u32 s12, s3, s12
	s_add_i32 s3, s3, s12
	s_mul_hi_u32 s3, s6, s3
	s_mul_i32 s12, s3, s7
	s_sub_i32 s6, s6, s12
	s_add_i32 s12, s3, 1
	s_sub_i32 s13, s6, s7
	s_cmp_ge_u32 s6, s7
	s_cselect_b32 s3, s12, s3
	s_cselect_b32 s6, s13, s6
	s_add_i32 s12, s3, 1
	s_cmp_ge_u32 s6, s7
	s_cselect_b32 s3, s12, s3
.LBB0_8:
	v_mul_u32_u24_e32 v1, 0x148, v0
	s_lshl_b64 s[6:7], s[10:11], 3
	v_mov_b32_e32 v33, 0
	s_add_u32 s10, s14, s6
	s_addc_u32 s11, s15, s7
	v_lshrrev_b32_e32 v21, 16, v1
	s_load_dwordx2 s[10:11], s[10:11], 0x0
	v_mul_u32_u24_e32 v23, 0x667, v0
	v_mov_b32_e32 v35, 4
	v_mul_lo_u16 v1, 0xc8, v21
	v_mul_lo_u32 v32, s22, v21
	v_lshrrev_b32_e32 v23, 16, v23
	v_mul_u32_u24_e32 v21, 0xc80, v21
	v_sub_nc_u16 v1, v0, v1
	v_add_nc_u32_e32 v24, s23, v23
	v_mul_lo_u16 v23, v23, 40
	v_lshlrev_b64 v[3:4], 4, v[32:33]
	v_and_b32_e32 v22, 0xffff, v1
	v_mul_hi_u32 v25, 0xcccccccd, v24
	v_sub_nc_u16 v37, v0, v23
	v_mad_u64_u32 v[1:2], null, s20, v22, 0
	s_waitcnt lgkmcnt(0)
	s_mul_i32 s11, s11, s3
	s_mul_hi_u32 s12, s10, s3
	s_mul_i32 s10, s10, s3
	s_add_i32 s11, s12, s11
	s_add_u32 s6, s24, s6
	s_addc_u32 s7, s25, s7
	v_mad_u64_u32 v[5:6], null, s21, v22, v[2:3]
	s_lshl_b64 s[10:11], s[10:11], 4
	v_lshrrev_b32_e32 v25, 3, v25
	s_add_u32 s12, s16, s10
	s_addc_u32 s13, s17, s11
	s_lshl_b64 s[10:11], s[26:27], 4
	v_lshlrev_b32_e32 v22, 4, v22
	s_add_u32 s10, s12, s10
	s_addc_u32 s11, s13, s11
	s_lshl_b32 s12, s22, 1
	v_mov_b32_e32 v2, v5
	v_add_nc_u32_e32 v32, s12, v32
	v_mul_lo_u32 v25, v25, 10
	v_add3_u32 v21, 0, v21, v22
	v_lshlrev_b64 v[1:2], 4, v[1:2]
	v_lshlrev_b64 v[6:7], 4, v[32:33]
	v_add_nc_u32_e32 v32, s12, v32
	v_add_nc_u32_e32 v22, 0x6000, v21
	v_sub_nc_u32_e32 v24, v24, v25
	v_add_co_u32 v16, vcc_lo, s10, v1
	v_lshlrev_b64 v[8:9], 4, v[32:33]
	v_add_nc_u32_e32 v32, s12, v32
	v_add_co_ci_u32_e32 v18, vcc_lo, s11, v2, vcc_lo
	v_add_co_u32 v3, vcc_lo, v16, v3
	v_lshlrev_b64 v[10:11], 4, v[32:33]
	v_add_nc_u32_e32 v32, s12, v32
	v_add_co_ci_u32_e32 v4, vcc_lo, v18, v4, vcc_lo
	v_add_co_u32 v5, vcc_lo, v16, v6
	v_add_co_ci_u32_e32 v6, vcc_lo, v18, v7, vcc_lo
	v_lshlrev_b64 v[1:2], 4, v[32:33]
	v_add_co_u32 v12, vcc_lo, v16, v8
	v_add_co_ci_u32_e32 v13, vcc_lo, v18, v9, vcc_lo
	v_add_co_u32 v14, vcc_lo, v16, v10
	v_add_co_ci_u32_e32 v15, vcc_lo, v18, v11, vcc_lo
	;; [unrolled: 2-line block ×3, first 2 shown]
	s_clause 0x4
	global_load_dwordx4 v[1:4], v[3:4], off
	global_load_dwordx4 v[5:8], v[5:6], off
	;; [unrolled: 1-line block ×5, first 2 shown]
	v_mul_u32_u24_e32 v23, 0xc8, v24
	v_lshlrev_b32_sdwa v24, v35, v37 dst_sel:DWORD dst_unused:UNUSED_PAD src0_sel:DWORD src1_sel:WORD_0
	s_load_dwordx2 s[6:7], s[6:7], 0x0
	s_mov_b32 s10, exec_lo
	s_waitcnt vmcnt(4)
	ds_write_b128 v21, v[1:4]
	s_waitcnt vmcnt(3)
	ds_write_b128 v21, v[5:8] offset:6400
	s_waitcnt vmcnt(2)
	ds_write_b128 v21, v[9:12] offset:12800
	;; [unrolled: 2-line block ×3, first 2 shown]
	s_waitcnt vmcnt(0)
	ds_write2_b64 v22, v[17:18], v[19:20] offset0:128 offset1:129
	v_lshlrev_b32_e32 v38, 4, v23
	v_add_nc_u32_e32 v39, 0, v24
	s_waitcnt lgkmcnt(0)
	s_barrier
	buffer_gl0_inv
	v_add3_u32 v36, 0, v38, v24
	v_add_nc_u32_e32 v34, v39, v38
	ds_read_b128 v[13:16], v36
	ds_read_b128 v[5:8], v34 offset:400
	ds_read_b128 v[1:4], v34 offset:800
	;; [unrolled: 1-line block ×7, first 2 shown]
	s_waitcnt lgkmcnt(0)
	s_barrier
	buffer_gl0_inv
	v_cmpx_gt_u16_e32 25, v37
	s_cbranch_execz .LBB0_10
; %bb.9:
	v_add_f64 v[19:20], v[15:16], -v[19:20]
	v_add_f64 v[29:30], v[1:2], -v[29:30]
	;; [unrolled: 1-line block ×8, first 2 shown]
	s_mov_b32 s12, 0x667f3bcd
	s_mov_b32 s13, 0x3fe6a09e
	;; [unrolled: 1-line block ×4, first 2 shown]
	v_fma_f64 v[15:16], v[15:16], 2.0, -v[19:20]
	v_add_f64 v[40:41], v[19:20], v[29:30]
	v_fma_f64 v[7:8], v[7:8], 2.0, -v[23:24]
	v_add_f64 v[42:43], v[23:24], v[25:26]
	v_fma_f64 v[3:4], v[3:4], 2.0, -v[31:32]
	v_fma_f64 v[5:6], v[5:6], 2.0, -v[21:22]
	;; [unrolled: 1-line block ×6, first 2 shown]
	v_add_f64 v[25:26], v[21:22], -v[27:28]
	v_add_f64 v[27:28], v[17:18], -v[31:32]
	v_fma_f64 v[31:32], v[19:20], 2.0, -v[40:41]
	v_fma_f64 v[19:20], v[23:24], 2.0, -v[42:43]
	v_add_f64 v[29:30], v[15:16], -v[3:4]
	v_add_f64 v[9:10], v[5:6], -v[9:10]
	;; [unrolled: 1-line block ×4, first 2 shown]
	v_fma_f64 v[21:22], v[21:22], 2.0, -v[25:26]
	v_fma_f64 v[46:47], v[17:18], 2.0, -v[27:28]
	v_fma_f64 v[1:2], v[42:43], s[12:13], v[40:41]
	v_fma_f64 v[17:18], v[25:26], s[12:13], v[27:28]
	;; [unrolled: 1-line block ×3, first 2 shown]
	v_fma_f64 v[48:49], v[15:16], 2.0, -v[29:30]
	v_fma_f64 v[15:16], v[7:8], 2.0, -v[11:12]
	;; [unrolled: 1-line block ×4, first 2 shown]
	v_fma_f64 v[52:53], v[21:22], s[14:15], v[46:47]
	v_add_f64 v[7:8], v[29:30], v[9:10]
	v_add_f64 v[5:6], v[44:45], -v[11:12]
	v_fma_f64 v[3:4], v[25:26], s[12:13], v[1:2]
	v_fma_f64 v[1:2], v[42:43], s[14:15], v[17:18]
	;; [unrolled: 1-line block ×3, first 2 shown]
	v_add_f64 v[15:16], v[48:49], -v[15:16]
	v_add_f64 v[13:14], v[50:51], -v[13:14]
	v_fma_f64 v[9:10], v[19:20], s[14:15], v[52:53]
	v_fma_f64 v[23:24], v[29:30], 2.0, -v[7:8]
	v_fma_f64 v[21:22], v[44:45], 2.0, -v[5:6]
	;; [unrolled: 1-line block ×4, first 2 shown]
	v_mov_b32_e32 v40, 0x70
	v_mul_u32_u24_sdwa v40, v37, v40 dst_sel:DWORD dst_unused:UNUSED_PAD src0_sel:WORD_0 src1_sel:DWORD
	v_fma_f64 v[27:28], v[31:32], 2.0, -v[11:12]
	v_add3_u32 v39, v39, v40, v38
	v_fma_f64 v[31:32], v[48:49], 2.0, -v[15:16]
	v_fma_f64 v[29:30], v[50:51], 2.0, -v[13:14]
	;; [unrolled: 1-line block ×3, first 2 shown]
	ds_write_b128 v39, v[5:8] offset:96
	ds_write_b128 v39, v[21:24] offset:32
	;; [unrolled: 1-line block ×5, first 2 shown]
	ds_write_b128 v39, v[29:32]
	ds_write_b128 v39, v[25:28] offset:16
	ds_write_b128 v39, v[1:4] offset:112
.LBB0_10:
	s_or_b32 exec_lo, exec_lo, s10
	v_mov_b32_e32 v1, 7
	s_waitcnt lgkmcnt(0)
	s_barrier
	buffer_gl0_inv
	s_mov_b32 s12, 0x134454ff
	v_and_b32_sdwa v57, v37, v1 dst_sel:DWORD dst_unused:UNUSED_PAD src0_sel:WORD_0 src1_sel:DWORD
	s_mov_b32 s13, 0x3fee6f0e
	s_mov_b32 s15, 0xbfee6f0e
	;; [unrolled: 1-line block ×4, first 2 shown]
	v_lshlrev_b32_e32 v13, 6, v57
	s_mov_b32 s17, 0x3fe2cf23
	s_mov_b32 s21, 0xbfe2cf23
	;; [unrolled: 1-line block ×4, first 2 shown]
	s_clause 0x3
	global_load_dwordx4 v[1:4], v13, s[8:9]
	global_load_dwordx4 v[5:8], v13, s[8:9] offset:16
	global_load_dwordx4 v[9:12], v13, s[8:9] offset:32
	;; [unrolled: 1-line block ×3, first 2 shown]
	ds_read_b128 v[17:20], v34 offset:640
	ds_read_b128 v[21:24], v34 offset:1280
	;; [unrolled: 1-line block ×4, first 2 shown]
	s_mov_b32 s11, 0x3fd3c6ef
	s_mul_i32 s7, s7, s3
	s_waitcnt vmcnt(3) lgkmcnt(3)
	v_mul_f64 v[39:40], v[19:20], v[3:4]
	s_waitcnt vmcnt(2) lgkmcnt(2)
	v_mul_f64 v[41:42], v[23:24], v[7:8]
	;; [unrolled: 2-line block ×3, first 2 shown]
	v_mul_f64 v[7:8], v[21:22], v[7:8]
	v_mul_f64 v[11:12], v[25:26], v[11:12]
	;; [unrolled: 1-line block ×3, first 2 shown]
	s_waitcnt vmcnt(0) lgkmcnt(0)
	v_mul_f64 v[45:46], v[31:32], v[15:16]
	v_mul_f64 v[15:16], v[29:30], v[15:16]
	v_fma_f64 v[17:18], v[17:18], v[1:2], -v[39:40]
	v_fma_f64 v[21:22], v[21:22], v[5:6], -v[41:42]
	v_fma_f64 v[25:26], v[25:26], v[9:10], -v[43:44]
	v_fma_f64 v[5:6], v[23:24], v[5:6], v[7:8]
	v_fma_f64 v[7:8], v[27:28], v[9:10], v[11:12]
	;; [unrolled: 1-line block ×3, first 2 shown]
	v_fma_f64 v[29:30], v[29:30], v[13:14], -v[45:46]
	v_fma_f64 v[9:10], v[31:32], v[13:14], v[15:16]
	ds_read_b128 v[1:4], v36
	s_waitcnt lgkmcnt(0)
	s_barrier
	buffer_gl0_inv
	v_add_f64 v[41:42], v[17:18], -v[21:22]
	v_add_f64 v[11:12], v[21:22], v[25:26]
	v_add_f64 v[15:16], v[5:6], v[7:8]
	v_add_f64 v[39:40], v[5:6], -v[7:8]
	v_add_f64 v[13:14], v[17:18], v[29:30]
	v_add_f64 v[23:24], v[19:20], v[9:10]
	;; [unrolled: 1-line block ×4, first 2 shown]
	v_add_f64 v[31:32], v[19:20], -v[9:10]
	v_add_f64 v[43:44], v[29:30], -v[25:26]
	;; [unrolled: 1-line block ×8, first 2 shown]
	v_fma_f64 v[11:12], v[11:12], -0.5, v[1:2]
	v_fma_f64 v[15:16], v[15:16], -0.5, v[3:4]
	;; [unrolled: 1-line block ×3, first 2 shown]
	v_add_f64 v[13:14], v[21:22], -v[25:26]
	v_fma_f64 v[3:4], v[23:24], -0.5, v[3:4]
	v_add_f64 v[21:22], v[27:28], v[21:22]
	v_add_f64 v[5:6], v[45:46], v[5:6]
	v_add_f64 v[23:24], v[25:26], -v[29:30]
	v_add_f64 v[27:28], v[41:42], v[43:44]
	v_add_f64 v[19:20], v[19:20], v[53:54]
	v_fma_f64 v[41:42], v[31:32], s[12:13], v[11:12]
	v_fma_f64 v[11:12], v[31:32], s[14:15], v[11:12]
	v_fma_f64 v[45:46], v[47:48], s[14:15], v[15:16]
	v_fma_f64 v[15:16], v[47:48], s[12:13], v[15:16]
	v_fma_f64 v[43:44], v[39:40], s[14:15], v[1:2]
	v_fma_f64 v[1:2], v[39:40], s[12:13], v[1:2]
	v_fma_f64 v[55:56], v[13:14], s[12:13], v[3:4]
	v_fma_f64 v[3:4], v[13:14], s[14:15], v[3:4]
	v_add_f64 v[21:22], v[21:22], v[25:26]
	v_add_f64 v[5:6], v[5:6], v[7:8]
	v_add_f64 v[17:18], v[17:18], v[23:24]
	v_add_f64 v[23:24], v[49:50], v[51:52]
	v_fma_f64 v[7:8], v[39:40], s[16:17], v[41:42]
	v_fma_f64 v[11:12], v[39:40], s[20:21], v[11:12]
	;; [unrolled: 1-line block ×8, first 2 shown]
	v_mov_b32_e32 v1, 3
	v_add_f64 v[3:4], v[5:6], v[9:10]
	v_lshrrev_b32_sdwa v1, v1, v37 dst_sel:DWORD dst_unused:UNUSED_PAD src0_sel:DWORD src1_sel:WORD_0
	v_mul_u32_u24_e32 v47, 40, v1
	v_add_f64 v[1:2], v[21:22], v[29:30]
	v_mov_b32_e32 v22, 6
	v_fma_f64 v[5:6], v[27:28], s[10:11], v[7:8]
	v_fma_f64 v[9:10], v[27:28], s[10:11], v[11:12]
	;; [unrolled: 1-line block ×8, first 2 shown]
	v_or_b32_e32 v21, v47, v57
	v_lshlrev_b32_sdwa v22, v22, v37 dst_sel:DWORD dst_unused:UNUSED_PAD src0_sel:DWORD src1_sel:WORD_0
	v_lshlrev_b32_e32 v21, 4, v21
	v_add3_u32 v21, 0, v21, v38
	ds_write_b128 v21, v[1:4]
	ds_write_b128 v21, v[5:8] offset:128
	ds_write_b128 v21, v[13:16] offset:256
	;; [unrolled: 1-line block ×4, first 2 shown]
	s_waitcnt lgkmcnt(0)
	s_barrier
	buffer_gl0_inv
	s_clause 0x3
	global_load_dwordx4 v[1:4], v22, s[8:9] offset:512
	global_load_dwordx4 v[5:8], v22, s[8:9] offset:528
	;; [unrolled: 1-line block ×4, first 2 shown]
	ds_read_b128 v[17:20], v34 offset:640
	ds_read_b128 v[21:24], v34 offset:1280
	;; [unrolled: 1-line block ×4, first 2 shown]
	s_mul_hi_u32 s8, s6, s3
	s_mul_i32 s9, s2, 40
	s_mul_i32 s6, s6, s3
	s_add_i32 s7, s8, s7
	s_lshl_b64 s[6:7], s[6:7], 4
	s_waitcnt vmcnt(3) lgkmcnt(3)
	v_mul_f64 v[37:38], v[19:20], v[3:4]
	s_waitcnt vmcnt(2) lgkmcnt(2)
	v_mul_f64 v[39:40], v[23:24], v[7:8]
	;; [unrolled: 2-line block ×4, first 2 shown]
	v_mul_f64 v[7:8], v[21:22], v[7:8]
	v_mul_f64 v[11:12], v[25:26], v[11:12]
	;; [unrolled: 1-line block ×4, first 2 shown]
	v_fma_f64 v[17:18], v[17:18], v[1:2], -v[37:38]
	v_fma_f64 v[21:22], v[21:22], v[5:6], -v[39:40]
	;; [unrolled: 1-line block ×4, first 2 shown]
	v_fma_f64 v[5:6], v[23:24], v[5:6], v[7:8]
	v_fma_f64 v[7:8], v[27:28], v[9:10], v[11:12]
	;; [unrolled: 1-line block ×4, first 2 shown]
	ds_read_b128 v[1:4], v36
	v_mov_b32_e32 v27, 0x199a
	s_waitcnt lgkmcnt(0)
	s_barrier
	buffer_gl0_inv
	v_mul_u32_u24_sdwa v27, v0, v27 dst_sel:DWORD dst_unused:UNUSED_PAD src0_sel:WORD_0 src1_sel:DWORD
	v_lshrrev_b32_e32 v31, 16, v27
	v_add_f64 v[11:12], v[21:22], v[25:26]
	v_add_f64 v[13:14], v[17:18], v[29:30]
	v_add_f64 v[42:43], v[17:18], -v[29:30]
	v_add_f64 v[15:16], v[5:6], v[7:8]
	v_add_f64 v[40:41], v[3:4], v[19:20]
	;; [unrolled: 1-line block ×4, first 2 shown]
	v_add_f64 v[36:37], v[19:20], -v[9:10]
	v_add_f64 v[38:39], v[5:6], -v[7:8]
	;; [unrolled: 1-line block ×4, first 2 shown]
	v_mul_lo_u16 v32, v31, 10
	v_add_f64 v[44:45], v[29:30], -v[25:26]
	v_add_f64 v[50:51], v[9:10], -v[7:8]
	;; [unrolled: 1-line block ×4, first 2 shown]
	v_sub_nc_u16 v58, v0, v32
	v_mul_lo_u32 v32, s2, v31
	v_lshlrev_b32_e32 v31, 4, v31
	v_and_b32_e32 v59, 0xffff, v58
	v_fma_f64 v[11:12], v[11:12], -0.5, v[1:2]
	v_fma_f64 v[1:2], v[13:14], -0.5, v[1:2]
	v_add_f64 v[13:14], v[21:22], -v[25:26]
	v_fma_f64 v[15:16], v[15:16], -0.5, v[3:4]
	v_add_f64 v[5:6], v[40:41], v[5:6]
	v_fma_f64 v[3:4], v[23:24], -0.5, v[3:4]
	v_add_f64 v[23:24], v[17:18], -v[21:22]
	v_add_f64 v[17:18], v[21:22], -v[17:18]
	v_add_f64 v[21:22], v[27:28], v[21:22]
	v_add_f64 v[48:49], v[48:49], v[50:51]
	;; [unrolled: 1-line block ×3, first 2 shown]
	v_fma_f64 v[27:28], v[36:37], s[12:13], v[11:12]
	v_fma_f64 v[40:41], v[38:39], s[14:15], v[1:2]
	;; [unrolled: 1-line block ×8, first 2 shown]
	v_add_f64 v[5:6], v[5:6], v[7:8]
	v_add_f64 v[21:22], v[21:22], v[25:26]
	;; [unrolled: 1-line block ×3, first 2 shown]
	v_mad_u64_u32 v[44:45], null, s0, v59, 0
	v_add_f64 v[17:18], v[17:18], v[46:47]
	v_lshlrev_b64 v[46:47], 4, v[32:33]
	v_add_nc_u32_e32 v32, s9, v32
	s_add_u32 s0, s18, s6
	s_addc_u32 s6, s19, s7
	s_lshl_b64 s[2:3], s[4:5], 4
	v_mov_b32_e32 v4, v45
	v_lshlrev_b64 v[50:51], 4, v[32:33]
	v_add_nc_u32_e32 v32, s9, v32
	v_fma_f64 v[7:8], v[38:39], s[16:17], v[27:28]
	v_fma_f64 v[25:26], v[36:37], s[16:17], v[40:41]
	;; [unrolled: 1-line block ×8, first 2 shown]
	v_mad_u64_u32 v[0:1], null, s1, v59, v[4:5]
	v_mul_lo_u16 v2, 0xc8, v58
	s_add_u32 s0, s0, s2
	s_addc_u32 s1, s6, s3
	v_lshlrev_b64 v[52:53], 4, v[32:33]
	v_add_nc_u32_e32 v32, s9, v32
	v_lshlrev_b32_sdwa v35, v35, v2 dst_sel:DWORD dst_unused:UNUSED_PAD src0_sel:DWORD src1_sel:WORD_0
	v_mov_b32_e32 v45, v0
	v_add_f64 v[0:1], v[21:22], v[29:30]
	v_add_f64 v[2:3], v[5:6], v[9:10]
	v_fma_f64 v[4:5], v[23:24], s[10:11], v[7:8]
	v_fma_f64 v[6:7], v[48:49], s[10:11], v[36:37]
	v_fma_f64 v[8:9], v[23:24], s[10:11], v[11:12]
	v_fma_f64 v[12:13], v[17:18], s[10:11], v[25:26]
	v_fma_f64 v[14:15], v[19:20], s[10:11], v[38:39]
	v_fma_f64 v[16:17], v[17:18], s[10:11], v[27:28]
	v_fma_f64 v[18:19], v[19:20], s[10:11], v[40:41]
	v_fma_f64 v[10:11], v[48:49], s[10:11], v[42:43]
	v_lshlrev_b64 v[20:21], 4, v[44:45]
	v_add3_u32 v26, 0, v35, v31
	v_add3_u32 v27, 0, v31, v35
	ds_write_b128 v34, v[0:3]
	ds_write_b128 v34, v[4:7] offset:640
	ds_write_b128 v34, v[12:15] offset:1280
	;; [unrolled: 1-line block ×4, first 2 shown]
	v_add_co_u32 v30, vcc_lo, s0, v20
	s_waitcnt lgkmcnt(0)
	s_barrier
	buffer_gl0_inv
	ds_read_b128 v[0:3], v26
	ds_read_b128 v[4:7], v27 offset:640
	ds_read_b128 v[8:11], v27 offset:1280
	;; [unrolled: 1-line block ×4, first 2 shown]
	v_add_co_ci_u32_e32 v31, vcc_lo, s1, v21, vcc_lo
	v_add_co_u32 v24, vcc_lo, v30, v46
	v_lshlrev_b64 v[22:23], 4, v[32:33]
	v_add_nc_u32_e32 v32, s9, v32
	v_add_co_ci_u32_e32 v25, vcc_lo, v31, v47, vcc_lo
	v_add_co_u32 v26, vcc_lo, v30, v50
	v_add_co_ci_u32_e32 v27, vcc_lo, v31, v51, vcc_lo
	v_lshlrev_b64 v[20:21], 4, v[32:33]
	v_add_co_u32 v28, vcc_lo, v30, v52
	v_add_co_ci_u32_e32 v29, vcc_lo, v31, v53, vcc_lo
	v_add_co_u32 v22, vcc_lo, v30, v22
	v_add_co_ci_u32_e32 v23, vcc_lo, v31, v23, vcc_lo
	;; [unrolled: 2-line block ×3, first 2 shown]
	s_waitcnt lgkmcnt(4)
	global_store_dwordx4 v[24:25], v[0:3], off
	s_waitcnt lgkmcnt(3)
	global_store_dwordx4 v[26:27], v[4:7], off
	;; [unrolled: 2-line block ×5, first 2 shown]
	s_endpgm
	.section	.rodata,"a",@progbits
	.p2align	6, 0x0
	.amdhsa_kernel fft_rtc_fwd_len200_factors_8_5_5_wgs_400_tpt_40_dp_op_CI_CI_sbrc_aligned
		.amdhsa_group_segment_fixed_size 0
		.amdhsa_private_segment_fixed_size 0
		.amdhsa_kernarg_size 104
		.amdhsa_user_sgpr_count 6
		.amdhsa_user_sgpr_private_segment_buffer 1
		.amdhsa_user_sgpr_dispatch_ptr 0
		.amdhsa_user_sgpr_queue_ptr 0
		.amdhsa_user_sgpr_kernarg_segment_ptr 1
		.amdhsa_user_sgpr_dispatch_id 0
		.amdhsa_user_sgpr_flat_scratch_init 0
		.amdhsa_user_sgpr_private_segment_size 0
		.amdhsa_wavefront_size32 1
		.amdhsa_uses_dynamic_stack 0
		.amdhsa_system_sgpr_private_segment_wavefront_offset 0
		.amdhsa_system_sgpr_workgroup_id_x 1
		.amdhsa_system_sgpr_workgroup_id_y 0
		.amdhsa_system_sgpr_workgroup_id_z 0
		.amdhsa_system_sgpr_workgroup_info 0
		.amdhsa_system_vgpr_workitem_id 0
		.amdhsa_next_free_vgpr 60
		.amdhsa_next_free_sgpr 45
		.amdhsa_reserve_vcc 1
		.amdhsa_reserve_flat_scratch 0
		.amdhsa_float_round_mode_32 0
		.amdhsa_float_round_mode_16_64 0
		.amdhsa_float_denorm_mode_32 3
		.amdhsa_float_denorm_mode_16_64 3
		.amdhsa_dx10_clamp 1
		.amdhsa_ieee_mode 1
		.amdhsa_fp16_overflow 0
		.amdhsa_workgroup_processor_mode 1
		.amdhsa_memory_ordered 1
		.amdhsa_forward_progress 0
		.amdhsa_shared_vgpr_count 0
		.amdhsa_exception_fp_ieee_invalid_op 0
		.amdhsa_exception_fp_denorm_src 0
		.amdhsa_exception_fp_ieee_div_zero 0
		.amdhsa_exception_fp_ieee_overflow 0
		.amdhsa_exception_fp_ieee_underflow 0
		.amdhsa_exception_fp_ieee_inexact 0
		.amdhsa_exception_int_div_zero 0
	.end_amdhsa_kernel
	.text
.Lfunc_end0:
	.size	fft_rtc_fwd_len200_factors_8_5_5_wgs_400_tpt_40_dp_op_CI_CI_sbrc_aligned, .Lfunc_end0-fft_rtc_fwd_len200_factors_8_5_5_wgs_400_tpt_40_dp_op_CI_CI_sbrc_aligned
                                        ; -- End function
	.section	.AMDGPU.csdata,"",@progbits
; Kernel info:
; codeLenInByte = 4268
; NumSgprs: 47
; NumVgprs: 60
; ScratchSize: 0
; MemoryBound: 0
; FloatMode: 240
; IeeeMode: 1
; LDSByteSize: 0 bytes/workgroup (compile time only)
; SGPRBlocks: 5
; VGPRBlocks: 7
; NumSGPRsForWavesPerEU: 47
; NumVGPRsForWavesPerEU: 60
; Occupancy: 13
; WaveLimiterHint : 1
; COMPUTE_PGM_RSRC2:SCRATCH_EN: 0
; COMPUTE_PGM_RSRC2:USER_SGPR: 6
; COMPUTE_PGM_RSRC2:TRAP_HANDLER: 0
; COMPUTE_PGM_RSRC2:TGID_X_EN: 1
; COMPUTE_PGM_RSRC2:TGID_Y_EN: 0
; COMPUTE_PGM_RSRC2:TGID_Z_EN: 0
; COMPUTE_PGM_RSRC2:TIDIG_COMP_CNT: 0
	.text
	.p2alignl 6, 3214868480
	.fill 48, 4, 3214868480
	.type	__hip_cuid_28bb2f38f67fe47b,@object ; @__hip_cuid_28bb2f38f67fe47b
	.section	.bss,"aw",@nobits
	.globl	__hip_cuid_28bb2f38f67fe47b
__hip_cuid_28bb2f38f67fe47b:
	.byte	0                               ; 0x0
	.size	__hip_cuid_28bb2f38f67fe47b, 1

	.ident	"AMD clang version 19.0.0git (https://github.com/RadeonOpenCompute/llvm-project roc-6.4.0 25133 c7fe45cf4b819c5991fe208aaa96edf142730f1d)"
	.section	".note.GNU-stack","",@progbits
	.addrsig
	.addrsig_sym __hip_cuid_28bb2f38f67fe47b
	.amdgpu_metadata
---
amdhsa.kernels:
  - .args:
      - .actual_access:  read_only
        .address_space:  global
        .offset:         0
        .size:           8
        .value_kind:     global_buffer
      - .offset:         8
        .size:           8
        .value_kind:     by_value
      - .actual_access:  read_only
        .address_space:  global
        .offset:         16
        .size:           8
        .value_kind:     global_buffer
      - .actual_access:  read_only
        .address_space:  global
        .offset:         24
        .size:           8
        .value_kind:     global_buffer
      - .actual_access:  read_only
        .address_space:  global
        .offset:         32
        .size:           8
        .value_kind:     global_buffer
      - .offset:         40
        .size:           8
        .value_kind:     by_value
      - .actual_access:  read_only
        .address_space:  global
        .offset:         48
        .size:           8
        .value_kind:     global_buffer
      - .actual_access:  read_only
        .address_space:  global
        .offset:         56
        .size:           8
        .value_kind:     global_buffer
      - .offset:         64
        .size:           4
        .value_kind:     by_value
      - .actual_access:  read_only
        .address_space:  global
        .offset:         72
        .size:           8
        .value_kind:     global_buffer
      - .actual_access:  read_only
        .address_space:  global
        .offset:         80
        .size:           8
        .value_kind:     global_buffer
      - .actual_access:  read_only
        .address_space:  global
        .offset:         88
        .size:           8
        .value_kind:     global_buffer
      - .actual_access:  write_only
        .address_space:  global
        .offset:         96
        .size:           8
        .value_kind:     global_buffer
    .group_segment_fixed_size: 0
    .kernarg_segment_align: 8
    .kernarg_segment_size: 104
    .language:       OpenCL C
    .language_version:
      - 2
      - 0
    .max_flat_workgroup_size: 400
    .name:           fft_rtc_fwd_len200_factors_8_5_5_wgs_400_tpt_40_dp_op_CI_CI_sbrc_aligned
    .private_segment_fixed_size: 0
    .sgpr_count:     47
    .sgpr_spill_count: 0
    .symbol:         fft_rtc_fwd_len200_factors_8_5_5_wgs_400_tpt_40_dp_op_CI_CI_sbrc_aligned.kd
    .uniform_work_group_size: 1
    .uses_dynamic_stack: false
    .vgpr_count:     60
    .vgpr_spill_count: 0
    .wavefront_size: 32
    .workgroup_processor_mode: 1
amdhsa.target:   amdgcn-amd-amdhsa--gfx1030
amdhsa.version:
  - 1
  - 2
...

	.end_amdgpu_metadata
